;; amdgpu-corpus repo=ROCm/rocFFT kind=compiled arch=gfx906 opt=O3
	.text
	.amdgcn_target "amdgcn-amd-amdhsa--gfx906"
	.amdhsa_code_object_version 6
	.protected	bluestein_single_back_len264_dim1_sp_op_CI_CI ; -- Begin function bluestein_single_back_len264_dim1_sp_op_CI_CI
	.globl	bluestein_single_back_len264_dim1_sp_op_CI_CI
	.p2align	8
	.type	bluestein_single_back_len264_dim1_sp_op_CI_CI,@function
bluestein_single_back_len264_dim1_sp_op_CI_CI: ; @bluestein_single_back_len264_dim1_sp_op_CI_CI
; %bb.0:
	v_mul_u32_u24_e32 v1, 0x7c2, v0
	s_load_dwordx4 s[8:11], s[4:5], 0x28
	v_lshrrev_b32_e32 v1, 16, v1
	v_mad_u64_u32 v[64:65], s[0:1], s6, 7, v[1:2]
	v_mov_b32_e32 v65, 0
	s_waitcnt lgkmcnt(0)
	v_cmp_gt_u64_e32 vcc, s[8:9], v[64:65]
	s_and_saveexec_b64 s[0:1], vcc
	s_cbranch_execz .LBB0_18
; %bb.1:
	s_load_dwordx4 s[0:3], s[4:5], 0x18
	s_load_dwordx4 s[12:15], s[4:5], 0x0
	v_mul_lo_u16_e32 v1, 33, v1
	v_sub_u16_e32 v76, v0, v1
	v_lshlrev_b32_e32 v78, 3, v76
	s_waitcnt lgkmcnt(0)
	s_load_dwordx4 s[16:19], s[0:1], 0x0
	s_waitcnt lgkmcnt(0)
	v_mad_u64_u32 v[0:1], s[0:1], s18, v64, 0
	v_mad_u64_u32 v[2:3], s[0:1], s16, v76, 0
	s_load_dwordx2 s[4:5], s[4:5], 0x38
	v_mad_u64_u32 v[4:5], s[0:1], s19, v64, v[1:2]
	v_mad_u64_u32 v[5:6], s[0:1], s17, v76, v[3:4]
	v_mov_b32_e32 v1, v4
	v_lshlrev_b64 v[0:1], 3, v[0:1]
	v_mov_b32_e32 v6, s11
	v_mov_b32_e32 v3, v5
	v_add_co_u32_e32 v4, vcc, s10, v0
	v_addc_co_u32_e32 v5, vcc, v6, v1, vcc
	v_lshlrev_b64 v[0:1], 3, v[2:3]
	s_mul_i32 s0, s17, 0x108
	v_add_co_u32_e32 v0, vcc, v4, v0
	s_mul_hi_u32 s1, s16, 0x108
	v_addc_co_u32_e32 v1, vcc, v5, v1, vcc
	s_add_i32 s0, s1, s0
	s_mul_i32 s1, s16, 0x108
	global_load_dwordx2 v[2:3], v[0:1], off
	v_mov_b32_e32 v4, s0
	v_add_co_u32_e32 v0, vcc, s1, v0
	v_addc_co_u32_e32 v1, vcc, v1, v4, vcc
	global_load_dwordx2 v[4:5], v[0:1], off
	v_mov_b32_e32 v6, s0
	v_add_co_u32_e32 v0, vcc, s1, v0
	v_addc_co_u32_e32 v1, vcc, v1, v6, vcc
	v_mov_b32_e32 v7, s0
	v_add_co_u32_e32 v6, vcc, s1, v0
	v_addc_co_u32_e32 v7, vcc, v1, v7, vcc
	;; [unrolled: 3-line block ×3, first 2 shown]
	global_load_dwordx2 v[67:68], v78, s[12:13]
	global_load_dwordx2 v[65:66], v78, s[12:13] offset:264
	global_load_dwordx2 v[60:61], v78, s[12:13] offset:528
	;; [unrolled: 1-line block ×3, first 2 shown]
	global_load_dwordx2 v[10:11], v[0:1], off
	global_load_dwordx2 v[12:13], v[6:7], off
	;; [unrolled: 1-line block ×3, first 2 shown]
	global_load_dwordx2 v[54:55], v78, s[12:13] offset:1056
	v_mov_b32_e32 v1, s0
	v_add_co_u32_e32 v0, vcc, s1, v8
	v_addc_co_u32_e32 v1, vcc, v9, v1, vcc
	global_load_dwordx2 v[6:7], v[0:1], off
	v_mov_b32_e32 v8, s0
	v_add_co_u32_e32 v0, vcc, s1, v0
	v_addc_co_u32_e32 v1, vcc, v1, v8, vcc
	global_load_dwordx2 v[62:63], v78, s[12:13] offset:1320
	global_load_dwordx2 v[8:9], v[0:1], off
	global_load_dwordx2 v[56:57], v78, s[12:13] offset:1584
	v_mov_b32_e32 v16, s0
	v_add_co_u32_e32 v0, vcc, s1, v0
	v_addc_co_u32_e32 v1, vcc, v1, v16, vcc
	global_load_dwordx2 v[58:59], v78, s[12:13] offset:1848
	global_load_dwordx2 v[16:17], v[0:1], off
	s_mov_b32 s0, 0x24924925
	v_mul_hi_u32 v0, v64, s0
	s_load_dwordx4 s[8:11], s[2:3], 0x0
	v_cmp_gt_u16_e64 s[0:1], 22, v76
	v_sub_u32_e32 v1, v64, v0
	v_lshrrev_b32_e32 v1, 1, v1
	v_add_u32_e32 v0, v1, v0
	v_lshrrev_b32_e32 v0, 2, v0
	v_mul_lo_u32 v0, v0, 7
	v_sub_u32_e32 v0, v64, v0
	v_mul_u32_u24_e32 v0, 0x108, v0
	v_lshlrev_b32_e32 v77, 3, v0
	v_add_u32_e32 v75, v78, v77
	s_waitcnt vmcnt(13)
	v_mul_f32_e32 v0, v3, v68
	v_mul_f32_e32 v1, v2, v68
	v_fmac_f32_e32 v0, v2, v67
	v_fma_f32 v1, v3, v67, -v1
	s_waitcnt vmcnt(12)
	v_mul_f32_e32 v2, v5, v66
	v_mul_f32_e32 v3, v4, v66
	v_fmac_f32_e32 v2, v4, v65
	v_fma_f32 v3, v5, v65, -v3
	s_waitcnt vmcnt(9)
	v_mul_f32_e32 v4, v11, v61
	v_mul_f32_e32 v5, v10, v61
	ds_write2_b64 v75, v[0:1], v[2:3] offset1:33
	s_waitcnt vmcnt(8)
	v_mul_f32_e32 v0, v13, v53
	v_mul_f32_e32 v1, v12, v53
	v_fmac_f32_e32 v4, v10, v60
	v_fma_f32 v5, v11, v60, -v5
	v_fmac_f32_e32 v0, v12, v52
	v_fma_f32 v1, v13, v52, -v1
	ds_write2_b64 v75, v[4:5], v[0:1] offset0:66 offset1:99
	s_waitcnt vmcnt(6)
	v_mul_f32_e32 v0, v15, v55
	v_mul_f32_e32 v1, v14, v55
	s_waitcnt vmcnt(4)
	v_mul_f32_e32 v2, v7, v63
	v_mul_f32_e32 v3, v6, v63
	v_fmac_f32_e32 v0, v14, v54
	v_fma_f32 v1, v15, v54, -v1
	v_fmac_f32_e32 v2, v6, v62
	v_fma_f32 v3, v7, v62, -v3
	ds_write2_b64 v75, v[0:1], v[2:3] offset0:132 offset1:165
	s_waitcnt vmcnt(2)
	v_mul_f32_e32 v0, v9, v57
	v_mul_f32_e32 v1, v8, v57
	s_waitcnt vmcnt(0)
	v_mul_f32_e32 v2, v17, v59
	v_mul_f32_e32 v3, v16, v59
	v_fmac_f32_e32 v0, v8, v56
	v_fma_f32 v1, v9, v56, -v1
	v_fmac_f32_e32 v2, v16, v58
	v_fma_f32 v3, v17, v58, -v3
	ds_write2_b64 v75, v[0:1], v[2:3] offset0:198 offset1:231
	s_waitcnt lgkmcnt(0)
	s_barrier
	ds_read2_b64 v[0:3], v75 offset1:33
	ds_read2_b64 v[4:7], v75 offset0:132 offset1:165
	ds_read2_b64 v[8:11], v75 offset0:66 offset1:99
	ds_read2_b64 v[12:15], v75 offset0:198 offset1:231
	s_waitcnt lgkmcnt(0)
	s_barrier
	v_sub_f32_e32 v4, v0, v4
	v_sub_f32_e32 v5, v1, v5
	;; [unrolled: 1-line block ×8, first 2 shown]
	v_fma_f32 v0, v0, 2.0, -v4
	v_fma_f32 v1, v1, 2.0, -v5
	;; [unrolled: 1-line block ×8, first 2 shown]
	v_sub_f32_e32 v13, v4, v13
	v_add_f32_e32 v12, v5, v12
	v_sub_f32_e32 v8, v0, v8
	v_sub_f32_e32 v9, v1, v9
	v_fma_f32 v18, v4, 2.0, -v13
	v_fma_f32 v19, v5, 2.0, -v12
	v_sub_f32_e32 v10, v2, v10
	v_sub_f32_e32 v11, v3, v11
	;; [unrolled: 1-line block ×3, first 2 shown]
	v_add_f32_e32 v14, v7, v14
	v_mov_b32_e32 v39, v12
	v_fma_f32 v16, v0, 2.0, -v8
	v_fma_f32 v17, v1, 2.0, -v9
	;; [unrolled: 1-line block ×6, first 2 shown]
	v_mov_b32_e32 v2, v18
	v_mov_b32_e32 v3, v19
	;; [unrolled: 1-line block ×3, first 2 shown]
	v_fmac_f32_e32 v39, 0x3f3504f3, v14
	v_fmac_f32_e32 v2, 0xbf3504f3, v6
	;; [unrolled: 1-line block ×5, first 2 shown]
	v_sub_f32_e32 v0, v16, v0
	v_sub_f32_e32 v1, v17, v1
	v_fmac_f32_e32 v2, 0xbf3504f3, v7
	v_fmac_f32_e32 v3, 0x3f3504f3, v6
	v_sub_f32_e32 v36, v8, v11
	v_add_f32_e32 v37, v9, v10
	v_fmac_f32_e32 v38, 0xbf3504f3, v14
	v_fma_f32 v11, v12, 2.0, -v39
	v_lshlrev_b16_e32 v12, 3, v76
	v_fma_f32 v4, v16, 2.0, -v0
	v_fma_f32 v5, v17, 2.0, -v1
	;; [unrolled: 1-line block ×7, first 2 shown]
	v_lshl_add_u32 v80, v12, 3, v77
	ds_write_b128 v80, v[4:7]
	ds_write_b128 v80, v[8:11] offset:16
	ds_write_b128 v80, v[0:3] offset:32
	ds_write_b128 v80, v[36:39] offset:48
	s_waitcnt lgkmcnt(0)
	s_barrier
	ds_read2_b64 v[40:43], v75 offset1:33
	ds_read2_b64 v[10:13], v75 offset0:88 offset1:121
	ds_read2_b64 v[6:9], v75 offset0:176 offset1:209
                                        ; implicit-def: $vgpr14
	s_and_saveexec_b64 s[2:3], s[0:1]
	s_cbranch_execz .LBB0_3
; %bb.2:
	ds_read2_b64 v[36:39], v75 offset0:66 offset1:154
	ds_read_b64 v[14:15], v75 offset:1936
.LBB0_3:
	s_or_b64 exec, exec, s[2:3]
	v_and_b32_e32 v19, 7, v76
	v_lshlrev_b32_e32 v0, 4, v19
	global_load_dwordx4 v[0:3], v0, s[14:15]
	v_add_u32_e32 v17, 33, v76
	v_and_b32_e32 v24, 7, v17
	v_add_co_u32_e32 v18, vcc, 0x42, v76
	v_and_b32_e32 v79, 7, v18
	v_mov_b32_e32 v16, s13
	v_lshrrev_b32_e32 v83, 3, v18
	s_waitcnt vmcnt(0) lgkmcnt(1)
	v_mul_f32_e32 v4, v11, v1
	v_fma_f32 v20, v10, v0, -v4
	s_waitcnt lgkmcnt(0)
	v_mul_f32_e32 v4, v7, v3
	v_fma_f32 v22, v6, v2, -v4
	v_mul_f32_e32 v23, v6, v3
	v_lshlrev_b32_e32 v4, 4, v24
	v_fmac_f32_e32 v23, v7, v2
	global_load_dwordx4 v[4:7], v4, s[14:15]
	v_mul_f32_e32 v21, v10, v1
	v_fmac_f32_e32 v21, v11, v0
	s_waitcnt vmcnt(0)
	v_mul_f32_e32 v10, v13, v5
	v_fma_f32 v25, v12, v4, -v10
	v_mul_f32_e32 v12, v12, v5
	v_mul_f32_e32 v10, v9, v7
	v_fmac_f32_e32 v12, v13, v4
	v_fma_f32 v13, v8, v6, -v10
	v_mul_f32_e32 v26, v8, v7
	v_lshlrev_b32_e32 v8, 4, v79
	v_fmac_f32_e32 v26, v9, v6
	global_load_dwordx4 v[8:11], v8, s[14:15]
	s_waitcnt vmcnt(0)
	s_barrier
	v_mul_f32_e32 v29, v15, v11
	v_fma_f32 v29, v14, v10, -v29
	v_mul_f32_e32 v14, v14, v11
	v_fmac_f32_e32 v14, v15, v10
	v_add_f32_e32 v15, v40, v20
	v_add_f32_e32 v32, v15, v22
	v_add_f32_e32 v15, v20, v22
	v_fma_f32 v44, -0.5, v15, v40
	v_sub_f32_e32 v15, v21, v23
	v_mov_b32_e32 v34, v44
	v_fmac_f32_e32 v34, 0x3f5db3d7, v15
	v_fmac_f32_e32 v44, 0xbf5db3d7, v15
	v_add_f32_e32 v15, v41, v21
	v_add_f32_e32 v33, v15, v23
	v_add_f32_e32 v15, v21, v23
	v_fma_f32 v45, -0.5, v15, v41
	v_sub_f32_e32 v15, v20, v22
	v_mov_b32_e32 v35, v45
	v_fmac_f32_e32 v35, 0xbf5db3d7, v15
	;; [unrolled: 8-line block ×3, first 2 shown]
	v_fmac_f32_e32 v42, 0xbf5db3d7, v15
	v_add_f32_e32 v15, v43, v12
	v_add_f32_e32 v12, v12, v26
	v_mul_f32_e32 v27, v39, v9
	v_fmac_f32_e32 v43, -0.5, v12
	v_fma_f32 v27, v38, v8, -v27
	v_sub_f32_e32 v12, v25, v13
	v_mov_b32_e32 v41, v43
	v_fmac_f32_e32 v41, 0xbf5db3d7, v12
	v_fmac_f32_e32 v43, 0x3f5db3d7, v12
	v_add_f32_e32 v12, v36, v27
	v_mul_f32_e32 v28, v38, v9
	v_add_f32_e32 v48, v12, v29
	v_add_f32_e32 v12, v27, v29
	v_fmac_f32_e32 v28, v39, v8
	v_fmac_f32_e32 v36, -0.5, v12
	v_sub_f32_e32 v12, v28, v14
	v_mov_b32_e32 v50, v36
	v_fmac_f32_e32 v50, 0x3f5db3d7, v12
	v_fmac_f32_e32 v36, 0xbf5db3d7, v12
	v_add_f32_e32 v12, v37, v28
	v_add_f32_e32 v49, v12, v14
	;; [unrolled: 1-line block ×3, first 2 shown]
	v_fmac_f32_e32 v37, -0.5, v12
	v_sub_f32_e32 v12, v27, v29
	v_mov_b32_e32 v51, v37
	v_fmac_f32_e32 v51, 0xbf5db3d7, v12
	v_fmac_f32_e32 v37, 0x3f5db3d7, v12
	v_lshrrev_b32_e32 v12, 3, v76
	v_mul_u32_u24_e32 v12, 24, v12
	v_or_b32_e32 v12, v12, v19
	v_lshl_add_u32 v81, v12, 3, v77
	v_lshrrev_b32_e32 v12, 3, v17
	v_mul_u32_u24_e32 v12, 24, v12
	v_or_b32_e32 v12, v12, v24
	v_add_f32_e32 v47, v15, v26
	v_lshl_add_u32 v82, v12, 3, v77
	ds_write2_b64 v81, v[32:33], v[34:35] offset1:8
	ds_write_b64 v81, v[44:45] offset:128
	ds_write2_b64 v82, v[46:47], v[40:41] offset1:8
	ds_write_b64 v82, v[42:43] offset:128
	s_and_saveexec_b64 s[2:3], s[0:1]
	s_cbranch_execz .LBB0_5
; %bb.4:
	v_mul_u32_u24_e32 v12, 24, v83
	v_or_b32_e32 v12, v12, v79
	v_lshl_add_u32 v12, v12, 3, v77
	ds_write2_b64 v12, v[48:49], v[50:51] offset1:8
	ds_write_b64 v12, v[36:37] offset:128
.LBB0_5:
	s_or_b64 exec, exec, s[2:3]
	v_add_co_u32_e32 v73, vcc, s12, v78
	v_addc_co_u32_e32 v74, vcc, 0, v16, vcc
	v_cmp_gt_u16_e32 vcc, 24, v76
	s_waitcnt lgkmcnt(0)
	s_barrier
	s_waitcnt lgkmcnt(0)
                                        ; implicit-def: $vgpr69
	s_and_saveexec_b64 s[2:3], vcc
	s_cbranch_execz .LBB0_7
; %bb.6:
	ds_read2_b64 v[32:35], v75 offset1:24
	ds_read2_b64 v[44:47], v75 offset0:48 offset1:72
	ds_read2_b64 v[40:43], v75 offset0:96 offset1:120
	;; [unrolled: 1-line block ×4, first 2 shown]
	ds_read_b64 v[69:70], v75 offset:1920
.LBB0_7:
	s_or_b64 exec, exec, s[2:3]
	v_subrev_u32_e32 v12, 24, v76
	v_cndmask_b32_e32 v12, v12, v76, vcc
	v_mul_hi_i32_i24_e32 v13, 0x50, v12
	v_mul_i32_i24_e32 v12, 0x50, v12
	v_mov_b32_e32 v14, s15
	v_add_co_u32_e64 v71, s[2:3], s14, v12
	v_addc_co_u32_e64 v72, s[2:3], v14, v13, s[2:3]
	global_load_dwordx4 v[24:27], v[71:72], off offset:128
	global_load_dwordx4 v[16:19], v[71:72], off offset:144
	global_load_dwordx4 v[12:15], v[71:72], off offset:160
	global_load_dwordx4 v[20:23], v[71:72], off offset:176
	global_load_dwordx4 v[28:31], v[71:72], off offset:192
	s_mov_b32 s6, 0x3f575c64
	s_mov_b32 s7, 0x3ed4b147
	;; [unrolled: 1-line block ×5, first 2 shown]
	s_waitcnt vmcnt(4) lgkmcnt(5)
	v_mul_f32_e32 v84, v34, v25
	s_waitcnt lgkmcnt(4)
	v_mul_f32_e32 v85, v44, v27
	s_waitcnt vmcnt(3) lgkmcnt(3)
	v_mul_f32_e32 v95, v41, v19
	v_fmac_f32_e32 v84, v35, v24
	s_waitcnt vmcnt(0) lgkmcnt(0)
	v_mul_f32_e32 v93, v69, v31
	v_mul_f32_e32 v92, v38, v29
	v_fmac_f32_e32 v93, v70, v30
	v_mul_f32_e32 v71, v35, v25
	v_mul_f32_e32 v94, v47, v17
	;; [unrolled: 1-line block ×9, first 2 shown]
	v_fmac_f32_e32 v85, v45, v26
	v_fma_f32 v40, v40, v18, -v95
	v_fmac_f32_e32 v92, v39, v28
	v_sub_f32_e32 v95, v84, v93
	v_mul_f32_e32 v72, v45, v27
	v_mul_f32_e32 v88, v42, v13
	;; [unrolled: 1-line block ×4, first 2 shown]
	v_fma_f32 v45, v46, v16, -v94
	v_fmac_f32_e32 v86, v47, v16
	v_fma_f32 v46, v34, v24, -v71
	v_fmac_f32_e32 v87, v41, v18
	v_fma_f32 v41, v42, v12, -v96
	v_fma_f32 v42, v48, v14, -v97
	;; [unrolled: 1-line block ×3, first 2 shown]
	v_fmac_f32_e32 v91, v37, v22
	v_fma_f32 v39, v69, v30, -v101
	v_sub_f32_e32 v97, v85, v92
	v_mul_f32_e32 v99, 0xbf0a6770, v95
	v_fma_f32 v44, v44, v26, -v72
	v_fmac_f32_e32 v90, v51, v20
	v_fma_f32 v38, v38, v28, -v100
	v_add_f32_e32 v36, v46, v39
	v_sub_f32_e32 v110, v86, v91
	v_mul_f32_e32 v100, 0xbf68dda4, v97
	v_mov_b32_e32 v34, v99
	v_mul_f32_e32 v98, v51, v21
	v_sub_f32_e32 v103, v46, v39
	v_add_f32_e32 v37, v44, v38
	v_sub_f32_e32 v113, v87, v90
	v_mul_f32_e32 v102, 0xbf7d64f0, v110
	v_mov_b32_e32 v70, v100
	v_fmac_f32_e32 v34, 0x3f575c64, v36
	v_mul_f32_e32 v89, v48, v15
	v_fmac_f32_e32 v88, v43, v12
	v_fma_f32 v43, v50, v20, -v98
	v_add_f32_e32 v48, v84, v93
	v_sub_f32_e32 v106, v44, v38
	v_add_f32_e32 v50, v45, v47
	v_mul_f32_e32 v105, 0xbf0a6770, v103
	v_mul_f32_e32 v101, 0xbf4178ce, v113
	v_mov_b32_e32 v72, v102
	v_fmac_f32_e32 v70, 0x3ed4b147, v37
	v_add_f32_e32 v34, v32, v34
	v_fmac_f32_e32 v89, v49, v14
	v_add_f32_e32 v49, v85, v92
	v_sub_f32_e32 v112, v45, v47
	v_add_f32_e32 v94, v40, v43
	v_mul_f32_e32 v107, 0xbf68dda4, v106
	v_fma_f32 v35, v48, s6, -v105
	v_mov_b32_e32 v96, v101
	v_fmac_f32_e32 v72, 0xbe11bafb, v50
	v_add_f32_e32 v34, v70, v34
	v_add_f32_e32 v51, v86, v91
	v_mul_f32_e32 v104, 0xbf7d64f0, v112
	v_fma_f32 v69, v49, s7, -v107
	v_add_f32_e32 v35, v33, v35
	v_add_f32_e32 v34, v72, v34
	v_fmac_f32_e32 v96, 0xbf27a4f4, v94
	v_sub_f32_e32 v121, v40, v43
	v_fma_f32 v71, v51, s14, -v104
	v_add_f32_e32 v35, v69, v35
	v_add_f32_e32 v34, v96, v34
	;; [unrolled: 1-line block ×3, first 2 shown]
	v_mul_f32_e32 v109, 0xbf4178ce, v121
	v_sub_f32_e32 v123, v88, v89
	v_add_f32_e32 v35, v71, v35
	v_fma_f32 v69, v96, s15, -v109
	v_mul_f32_e32 v111, 0xbe903f40, v123
	v_add_f32_e32 v35, v69, v35
	v_add_f32_e32 v98, v41, v42
	v_mov_b32_e32 v69, v111
	v_sub_f32_e32 v127, v41, v42
	v_fmac_f32_e32 v69, 0xbf75a155, v98
	v_add_f32_e32 v108, v88, v89
	v_mul_f32_e32 v114, 0xbe903f40, v127
	v_add_f32_e32 v69, v69, v34
	v_fma_f32 v34, v108, s16, -v114
	v_mul_f32_e32 v115, 0xbf68dda4, v95
	v_add_f32_e32 v70, v34, v35
	v_mov_b32_e32 v34, v115
	v_mul_f32_e32 v116, 0xbf4178ce, v97
	v_fmac_f32_e32 v34, 0x3ed4b147, v36
	v_mov_b32_e32 v35, v116
	v_add_f32_e32 v34, v32, v34
	v_fmac_f32_e32 v35, 0xbf27a4f4, v37
	v_mul_f32_e32 v119, 0xbf68dda4, v103
	v_add_f32_e32 v34, v35, v34
	v_fma_f32 v35, v48, s7, -v119
	v_mul_f32_e32 v120, 0xbf4178ce, v106
	v_add_f32_e32 v35, v33, v35
	v_fma_f32 v71, v49, s15, -v120
	v_mul_f32_e32 v117, 0x3e903f40, v110
	v_add_f32_e32 v35, v71, v35
	v_mov_b32_e32 v71, v117
	v_fmac_f32_e32 v71, 0xbf75a155, v50
	v_mul_f32_e32 v124, 0x3e903f40, v112
	v_add_f32_e32 v34, v71, v34
	v_fma_f32 v71, v51, s16, -v124
	v_mul_f32_e32 v118, 0x3f7d64f0, v113
	v_add_f32_e32 v35, v71, v35
	v_mov_b32_e32 v71, v118
	v_fmac_f32_e32 v71, 0xbe11bafb, v94
	;; [unrolled: 7-line block ×3, first 2 shown]
	v_mul_f32_e32 v126, 0x3f0a6770, v127
	v_add_f32_e32 v71, v71, v34
	v_fma_f32 v34, v108, s6, -v126
	v_mul_f32_e32 v128, 0xbf7d64f0, v95
	v_add_f32_e32 v72, v34, v35
	v_mov_b32_e32 v34, v128
	v_mul_f32_e32 v129, 0x3e903f40, v97
	v_fmac_f32_e32 v34, 0xbe11bafb, v36
	v_mov_b32_e32 v35, v129
	v_add_f32_e32 v34, v32, v34
	v_fmac_f32_e32 v35, 0xbf75a155, v37
	v_mul_f32_e32 v132, 0xbf7d64f0, v103
	v_add_f32_e32 v34, v35, v34
	v_fma_f32 v35, v48, s14, -v132
	v_mul_f32_e32 v133, 0x3e903f40, v106
	v_add_f32_e32 v35, v33, v35
	v_fma_f32 v130, v49, s16, -v133
	v_add_f32_e32 v35, v130, v35
	v_mul_f32_e32 v130, 0x3f68dda4, v110
	v_mov_b32_e32 v131, v130
	v_fmac_f32_e32 v131, 0x3ed4b147, v50
	v_mul_f32_e32 v135, 0x3f68dda4, v112
	v_add_f32_e32 v34, v131, v34
	v_fma_f32 v131, v51, s7, -v135
	v_add_f32_e32 v35, v131, v35
	v_mul_f32_e32 v131, 0xbf0a6770, v113
	v_mov_b32_e32 v134, v131
	v_fmac_f32_e32 v134, 0x3f575c64, v94
	v_mul_f32_e32 v136, 0xbf0a6770, v121
	v_add_f32_e32 v34, v134, v34
	v_fma_f32 v134, v96, s6, -v136
	v_add_f32_e32 v35, v134, v35
	v_mul_f32_e32 v134, 0xbf4178ce, v123
	v_mov_b32_e32 v138, v134
	v_mul_f32_e32 v137, 0xbf4178ce, v127
	v_fmac_f32_e32 v138, 0xbf27a4f4, v98
	v_fma_f32 v139, v108, s15, -v137
	v_add_f32_e32 v34, v138, v34
	v_add_f32_e32 v35, v139, v35
	s_and_saveexec_b64 s[2:3], vcc
	s_cbranch_execz .LBB0_9
; %bb.8:
	v_mul_f32_e32 v140, 0xbf75a155, v48
	v_mov_b32_e32 v138, v140
	v_mul_f32_e32 v141, 0x3f575c64, v49
	v_fmac_f32_e32 v138, 0x3e903f40, v103
	v_mov_b32_e32 v139, v141
	v_add_f32_e32 v138, v33, v138
	v_fmac_f32_e32 v139, 0xbf0a6770, v106
	v_mul_f32_e32 v142, 0xbf27a4f4, v51
	v_add_f32_e32 v138, v139, v138
	v_mov_b32_e32 v139, v142
	v_fmac_f32_e32 v139, 0x3f4178ce, v112
	v_mul_f32_e32 v143, 0x3ed4b147, v96
	v_add_f32_e32 v138, v139, v138
	v_mov_b32_e32 v139, v143
	;; [unrolled: 4-line block ×4, first 2 shown]
	v_mul_f32_e32 v176, 0x3f0a6770, v97
	v_fmac_f32_e32 v138, 0xbf75a155, v36
	v_mov_b32_e32 v177, v176
	v_fmac_f32_e32 v140, 0xbe903f40, v103
	v_add_f32_e32 v138, v32, v138
	v_fmac_f32_e32 v177, 0x3f575c64, v37
	v_add_f32_e32 v140, v33, v140
	;; [unrolled: 2-line block ×3, first 2 shown]
	v_mul_f32_e32 v177, 0xbf4178ce, v110
	v_add_f32_e32 v140, v141, v140
	v_fmac_f32_e32 v142, 0xbf4178ce, v112
	v_mov_b32_e32 v178, v177
	v_add_f32_e32 v140, v142, v140
	v_fmac_f32_e32 v143, 0x3f68dda4, v121
	v_fmac_f32_e32 v178, 0xbf27a4f4, v50
	v_add_f32_e32 v140, v143, v140
	v_fmac_f32_e32 v174, 0xbf7d64f0, v127
	v_add_f32_e32 v138, v178, v138
	v_mul_f32_e32 v178, 0x3f68dda4, v113
	v_add_f32_e32 v141, v174, v140
	v_fma_f32 v140, v36, s16, -v175
	v_mov_b32_e32 v179, v178
	v_add_f32_e32 v140, v32, v140
	v_fma_f32 v142, v37, s6, -v176
	v_fmac_f32_e32 v179, 0x3ed4b147, v94
	v_add_f32_e32 v140, v142, v140
	v_fma_f32 v142, v50, s15, -v177
	v_add_f32_e32 v138, v179, v138
	v_mul_f32_e32 v179, 0xbf7d64f0, v123
	v_add_f32_e32 v140, v142, v140
	v_fma_f32 v142, v94, s7, -v178
	v_mul_f32_e32 v174, 0xbf4178ce, v103
	v_add_f32_e32 v140, v142, v140
	v_fma_f32 v142, v98, s14, -v179
	v_mov_b32_e32 v103, v174
	v_mul_f32_e32 v106, 0x3f7d64f0, v106
	v_add_f32_e32 v140, v142, v140
	v_fmac_f32_e32 v103, 0xbf27a4f4, v48
	v_mov_b32_e32 v142, v106
	v_mul_f32_e32 v175, 0xbf0a6770, v112
	v_add_f32_e32 v103, v33, v103
	v_fmac_f32_e32 v142, 0xbe11bafb, v49
	v_mov_b32_e32 v112, v175
	v_add_f32_e32 v103, v142, v103
	v_fmac_f32_e32 v112, 0x3f575c64, v51
	v_mul_f32_e32 v121, 0xbe903f40, v121
	v_add_f32_e32 v103, v112, v103
	v_mov_b32_e32 v112, v121
	v_fmac_f32_e32 v112, 0xbf75a155, v96
	v_mul_f32_e32 v127, 0x3f68dda4, v127
	v_add_f32_e32 v103, v112, v103
	v_mov_b32_e32 v112, v127
	v_fmac_f32_e32 v112, 0x3ed4b147, v108
	v_mul_f32_e32 v95, 0xbf4178ce, v95
	v_add_f32_e32 v143, v112, v103
	v_fma_f32 v103, v36, s15, -v95
	v_mul_f32_e32 v97, 0x3f7d64f0, v97
	v_add_f32_e32 v103, v32, v103
	v_fma_f32 v112, v37, s14, -v97
	;; [unrolled: 3-line block ×4, first 2 shown]
	v_mul_f32_e32 v123, 0x3f68dda4, v123
	v_mul_f32_e32 v149, 0xbe11bafb, v48
	v_add_f32_e32 v103, v112, v103
	v_fma_f32 v112, v98, s7, -v123
	v_mul_f32_e32 v155, 0xbf75a155, v49
	v_add_f32_e32 v142, v112, v103
	v_add_f32_e32 v103, v132, v149
	v_mul_f32_e32 v161, 0x3ed4b147, v51
	v_add_f32_e32 v103, v33, v103
	v_add_f32_e32 v112, v133, v155
	;; [unrolled: 3-line block ×5, first 2 shown]
	v_mul_f32_e32 v154, 0xbf75a155, v37
	v_add_f32_e32 v113, v112, v103
	v_sub_f32_e32 v103, v148, v128
	v_mul_f32_e32 v160, 0x3ed4b147, v50
	v_add_f32_e32 v103, v32, v103
	v_sub_f32_e32 v112, v154, v129
	v_mul_f32_e32 v166, 0x3f575c64, v94
	v_add_f32_e32 v103, v112, v103
	v_sub_f32_e32 v112, v160, v130
	v_mul_f32_e32 v172, 0xbf27a4f4, v98
	v_add_f32_e32 v103, v112, v103
	v_sub_f32_e32 v112, v166, v131
	v_mul_f32_e32 v147, 0x3ed4b147, v48
	v_add_f32_e32 v103, v112, v103
	v_sub_f32_e32 v112, v172, v134
	v_mul_f32_e32 v153, 0xbf27a4f4, v49
	v_add_f32_e32 v112, v112, v103
	v_add_f32_e32 v103, v119, v147
	v_mul_f32_e32 v159, 0xbf75a155, v51
	v_add_f32_e32 v103, v33, v103
	v_add_f32_e32 v119, v120, v153
	;; [unrolled: 3-line block ×3, first 2 shown]
	v_add_f32_e32 v84, v33, v84
	v_add_f32_e32 v46, v32, v46
	v_mul_f32_e32 v171, 0x3f575c64, v108
	v_add_f32_e32 v103, v119, v103
	v_add_f32_e32 v119, v125, v165
	v_add_f32_e32 v84, v84, v85
	v_add_f32_e32 v44, v46, v44
	v_mul_f32_e32 v146, 0x3ed4b147, v36
	v_add_f32_e32 v103, v119, v103
	v_add_f32_e32 v119, v126, v171
	;; [unrolled: 1-line block ×4, first 2 shown]
	v_mul_f32_e32 v152, 0xbf27a4f4, v37
	v_add_f32_e32 v119, v119, v103
	v_sub_f32_e32 v103, v146, v115
	v_add_f32_e32 v84, v84, v87
	v_add_f32_e32 v40, v44, v40
	v_mul_f32_e32 v158, 0xbf75a155, v50
	v_add_f32_e32 v103, v32, v103
	v_sub_f32_e32 v115, v152, v116
	v_add_f32_e32 v84, v84, v88
	v_add_f32_e32 v40, v40, v41
	;; [unrolled: 5-line block ×4, first 2 shown]
	v_mul_f32_e32 v144, 0x3f575c64, v36
	v_mul_f32_e32 v145, 0x3f575c64, v48
	v_add_f32_e32 v103, v115, v103
	v_sub_f32_e32 v115, v170, v122
	v_add_f32_e32 v84, v84, v91
	v_add_f32_e32 v40, v40, v47
	v_mul_f32_e32 v150, 0x3ed4b147, v37
	v_mul_f32_e32 v151, 0x3ed4b147, v49
	v_add_f32_e32 v118, v115, v103
	v_add_f32_e32 v103, v105, v145
	v_sub_f32_e32 v99, v144, v99
	v_add_f32_e32 v84, v84, v92
	v_add_f32_e32 v38, v40, v38
	v_mul_f32_e32 v156, 0xbe11bafb, v50
	v_mul_f32_e32 v157, 0xbe11bafb, v51
	v_add_f32_e32 v103, v33, v103
	v_add_f32_e32 v105, v107, v151
	;; [unrolled: 1-line block ×3, first 2 shown]
	v_sub_f32_e32 v100, v150, v100
	v_add_f32_e32 v85, v84, v93
	v_add_f32_e32 v84, v38, v39
	v_fma_f32 v38, v48, s15, -v174
	v_fmac_f32_e32 v95, 0xbf27a4f4, v36
	v_mul_f32_e32 v162, 0xbf27a4f4, v94
	v_mul_f32_e32 v163, 0xbf27a4f4, v96
	v_add_f32_e32 v103, v105, v103
	v_add_f32_e32 v104, v104, v157
	;; [unrolled: 1-line block ×3, first 2 shown]
	v_sub_f32_e32 v100, v156, v102
	v_add_f32_e32 v33, v33, v38
	v_fma_f32 v38, v49, s14, -v106
	v_add_f32_e32 v32, v32, v95
	v_fmac_f32_e32 v97, 0xbe11bafb, v37
	v_mul_f32_e32 v168, 0xbf75a155, v98
	v_mul_f32_e32 v169, 0xbf75a155, v108
	v_add_f32_e32 v103, v104, v103
	v_add_f32_e32 v104, v109, v163
	;; [unrolled: 1-line block ×3, first 2 shown]
	v_sub_f32_e32 v100, v162, v101
	v_add_f32_e32 v33, v38, v33
	v_fma_f32 v38, v51, s6, -v175
	v_add_f32_e32 v32, v97, v32
	v_fmac_f32_e32 v110, 0x3f575c64, v50
	v_mov_b32_e32 v180, v179
	v_add_f32_e32 v103, v104, v103
	v_add_f32_e32 v104, v114, v169
	v_add_f32_e32 v99, v100, v99
	v_sub_f32_e32 v100, v168, v111
	v_add_f32_e32 v33, v38, v33
	v_fma_f32 v38, v96, s16, -v121
	v_add_f32_e32 v32, v110, v32
	v_fmac_f32_e32 v176, 0xbf75a155, v94
	v_fmac_f32_e32 v180, 0xbe11bafb, v98
	v_add_f32_e32 v103, v104, v103
	v_add_f32_e32 v102, v100, v99
	;; [unrolled: 1-line block ×3, first 2 shown]
	v_fma_f32 v38, v108, s7, -v127
	v_add_f32_e32 v32, v176, v32
	v_fmac_f32_e32 v123, 0x3ed4b147, v98
	v_lshl_add_u32 v36, v76, 3, v77
	v_add_f32_e32 v138, v180, v138
	v_add_f32_e32 v33, v38, v33
	;; [unrolled: 1-line block ×3, first 2 shown]
	ds_write_b64 v75, v[84:85]
	ds_write2_b64 v36, v[102:103], v[118:119] offset0:24 offset1:48
	ds_write2_b64 v36, v[112:113], v[142:143] offset0:72 offset1:96
	;; [unrolled: 1-line block ×5, first 2 shown]
.LBB0_9:
	s_or_b64 exec, exec, s[2:3]
	s_waitcnt lgkmcnt(0)
	s_barrier
	global_load_dwordx2 v[32:33], v[73:74], off offset:2112
	s_add_u32 s2, s12, 0x840
	s_addc_u32 s3, s13, 0
	global_load_dwordx2 v[48:49], v78, s[2:3] offset:264
	global_load_dwordx2 v[50:51], v78, s[2:3] offset:528
	;; [unrolled: 1-line block ×7, first 2 shown]
	ds_read2_b64 v[36:39], v75 offset1:33
	v_lshl_add_u32 v73, v76, 3, v77
	ds_read2_b64 v[40:43], v75 offset0:99 offset1:132
	ds_read2_b64 v[44:47], v75 offset0:165 offset1:198
	ds_read_b64 v[94:95], v73 offset:528
	ds_read_b64 v[96:97], v75 offset:1848
	s_waitcnt vmcnt(3) lgkmcnt(3)
	v_mul_f32_e32 v78, v43, v87
	v_mul_f32_e32 v74, v37, v33
	;; [unrolled: 1-line block ×3, first 2 shown]
	v_fma_f32 v98, v36, v32, -v74
	v_fmac_f32_e32 v99, v37, v32
	v_mul_f32_e32 v32, v39, v49
	v_mul_f32_e32 v33, v38, v49
	s_waitcnt lgkmcnt(1)
	v_mul_f32_e32 v36, v95, v51
	v_mul_f32_e32 v37, v94, v51
	;; [unrolled: 1-line block ×5, first 2 shown]
	s_waitcnt vmcnt(2)
	v_mul_f32_e32 v100, v45, v89
	v_mul_f32_e32 v85, v44, v89
	s_waitcnt vmcnt(1)
	v_mul_f32_e32 v101, v47, v91
	v_mul_f32_e32 v87, v46, v91
	s_waitcnt vmcnt(0) lgkmcnt(0)
	v_mul_f32_e32 v91, v97, v93
	v_mul_f32_e32 v89, v96, v93
	v_fma_f32 v32, v38, v48, -v32
	v_fmac_f32_e32 v33, v39, v48
	v_fma_f32 v36, v94, v50, -v36
	v_fmac_f32_e32 v37, v95, v50
	v_fma_f32 v48, v40, v84, -v74
	v_fmac_f32_e32 v49, v41, v84
	v_fma_f32 v50, v42, v86, -v78
	v_fmac_f32_e32 v51, v43, v86
	v_fma_f32 v84, v44, v88, -v100
	v_fmac_f32_e32 v85, v45, v88
	v_fma_f32 v86, v46, v90, -v101
	v_fmac_f32_e32 v87, v47, v90
	v_fma_f32 v88, v96, v92, -v91
	v_fmac_f32_e32 v89, v97, v92
	ds_write2_b64 v75, v[98:99], v[32:33] offset1:33
	ds_write_b64 v73, v[36:37] offset:528
	ds_write2_b64 v75, v[48:49], v[50:51] offset0:99 offset1:132
	ds_write2_b64 v75, v[84:85], v[86:87] offset0:165 offset1:198
	ds_write_b64 v75, v[88:89] offset:1848
	s_waitcnt lgkmcnt(0)
	s_barrier
	ds_read2_b64 v[36:39], v75 offset1:33
	ds_read2_b64 v[40:43], v75 offset0:99 offset1:132
	ds_read2_b64 v[44:47], v75 offset0:165 offset1:198
	ds_read_b64 v[32:33], v73 offset:528
	ds_read_b64 v[48:49], v75 offset:1848
	s_waitcnt lgkmcnt(0)
	v_sub_f32_e32 v42, v36, v42
	v_sub_f32_e32 v43, v37, v43
	v_sub_f32_e32 v46, v32, v46
	v_sub_f32_e32 v47, v33, v47
	v_sub_f32_e32 v44, v38, v44
	v_sub_f32_e32 v45, v39, v45
	v_sub_f32_e32 v48, v40, v48
	v_sub_f32_e32 v49, v41, v49
	v_fma_f32 v36, v36, 2.0, -v42
	v_fma_f32 v37, v37, 2.0, -v43
	;; [unrolled: 1-line block ×8, first 2 shown]
	v_add_f32_e32 v50, v42, v47
	v_sub_f32_e32 v51, v43, v46
	v_add_f32_e32 v74, v44, v49
	v_sub_f32_e32 v32, v36, v32
	v_sub_f32_e32 v33, v37, v33
	v_fma_f32 v42, v42, 2.0, -v50
	v_fma_f32 v43, v43, 2.0, -v51
	v_sub_f32_e32 v49, v38, v40
	v_sub_f32_e32 v40, v39, v41
	;; [unrolled: 1-line block ×3, first 2 shown]
	v_fma_f32 v41, v36, 2.0, -v32
	v_fma_f32 v46, v37, 2.0, -v33
	;; [unrolled: 1-line block ×6, first 2 shown]
	v_mov_b32_e32 v38, v42
	v_mov_b32_e32 v39, v43
	v_fmac_f32_e32 v38, 0xbf3504f3, v47
	v_fmac_f32_e32 v39, 0xbf3504f3, v48
	v_sub_f32_e32 v37, v46, v37
	v_fmac_f32_e32 v38, 0x3f3504f3, v48
	v_fmac_f32_e32 v39, 0xbf3504f3, v47
	v_fma_f32 v45, v46, 2.0, -v37
	v_fma_f32 v46, v42, 2.0, -v38
	;; [unrolled: 1-line block ×3, first 2 shown]
	v_mov_b32_e32 v42, v50
	v_mov_b32_e32 v43, v51
	v_sub_f32_e32 v36, v41, v36
	v_fmac_f32_e32 v42, 0x3f3504f3, v74
	v_fmac_f32_e32 v43, 0x3f3504f3, v78
	v_fma_f32 v44, v41, 2.0, -v36
	v_add_f32_e32 v40, v32, v40
	v_sub_f32_e32 v41, v33, v49
	v_fmac_f32_e32 v42, 0x3f3504f3, v78
	v_fmac_f32_e32 v43, 0xbf3504f3, v74
	v_fma_f32 v48, v32, 2.0, -v40
	v_fma_f32 v49, v33, 2.0, -v41
	;; [unrolled: 1-line block ×4, first 2 shown]
	s_barrier
	ds_write_b128 v80, v[44:47]
	ds_write_b128 v80, v[48:51] offset:16
	ds_write_b128 v80, v[36:39] offset:32
	;; [unrolled: 1-line block ×3, first 2 shown]
	s_waitcnt lgkmcnt(0)
	s_barrier
	ds_read2_b64 v[36:39], v75 offset1:33
	ds_read2_b64 v[48:51], v75 offset0:88 offset1:121
	ds_read2_b64 v[44:47], v75 offset0:176 offset1:209
	s_and_saveexec_b64 s[2:3], s[0:1]
	s_cbranch_execz .LBB0_11
; %bb.10:
	ds_read2_b64 v[32:35], v75 offset0:154 offset1:242
	ds_read_b64 v[40:41], v73 offset:528
	s_waitcnt lgkmcnt(1)
	v_mov_b32_e32 v42, v32
	v_mov_b32_e32 v43, v33
.LBB0_11:
	s_or_b64 exec, exec, s[2:3]
	s_waitcnt lgkmcnt(1)
	v_mul_f32_e32 v32, v1, v49
	v_fmac_f32_e32 v32, v0, v48
	v_mul_f32_e32 v1, v1, v48
	s_waitcnt lgkmcnt(0)
	v_mul_f32_e32 v48, v3, v45
	v_fma_f32 v33, v0, v49, -v1
	v_fmac_f32_e32 v48, v2, v44
	v_mul_f32_e32 v0, v3, v44
	v_fma_f32 v3, v2, v45, -v0
	v_mul_f32_e32 v44, v5, v51
	v_mul_f32_e32 v0, v5, v50
	v_add_f32_e32 v1, v32, v48
	v_fmac_f32_e32 v44, v4, v50
	v_fma_f32 v45, v4, v51, -v0
	v_fma_f32 v4, -0.5, v1, v36
	v_sub_f32_e32 v1, v33, v3
	v_mov_b32_e32 v2, v4
	v_fmac_f32_e32 v2, 0xbf5db3d7, v1
	v_fmac_f32_e32 v4, 0x3f5db3d7, v1
	v_add_f32_e32 v1, v37, v33
	v_mul_f32_e32 v49, v7, v47
	v_add_f32_e32 v1, v1, v3
	v_add_f32_e32 v3, v33, v3
	v_fmac_f32_e32 v49, v6, v46
	v_mul_f32_e32 v0, v7, v46
	v_fma_f32 v5, -0.5, v3, v37
	v_fma_f32 v46, v6, v47, -v0
	v_mul_f32_e32 v47, v9, v43
	v_mul_f32_e32 v0, v9, v42
	v_sub_f32_e32 v6, v32, v48
	v_mov_b32_e32 v3, v5
	v_add_f32_e32 v7, v44, v49
	v_fmac_f32_e32 v47, v8, v42
	v_fma_f32 v42, v8, v43, -v0
	v_mul_f32_e32 v0, v11, v34
	v_fmac_f32_e32 v3, 0x3f5db3d7, v6
	v_fmac_f32_e32 v5, 0xbf5db3d7, v6
	v_add_f32_e32 v6, v38, v44
	v_fma_f32 v38, -0.5, v7, v38
	v_mul_f32_e32 v43, v11, v35
	v_fma_f32 v11, v10, v35, -v0
	v_add_f32_e32 v0, v36, v32
	v_sub_f32_e32 v7, v45, v46
	v_mov_b32_e32 v36, v38
	v_add_f32_e32 v8, v45, v46
	v_fmac_f32_e32 v43, v10, v34
	v_fmac_f32_e32 v36, 0xbf5db3d7, v7
	;; [unrolled: 1-line block ×3, first 2 shown]
	v_add_f32_e32 v7, v39, v45
	v_fmac_f32_e32 v39, -0.5, v8
	v_sub_f32_e32 v8, v44, v49
	v_mov_b32_e32 v37, v39
	v_add_f32_e32 v9, v47, v43
	v_fmac_f32_e32 v37, 0x3f5db3d7, v8
	v_fmac_f32_e32 v39, 0xbf5db3d7, v8
	v_add_f32_e32 v8, v47, v40
	v_fmac_f32_e32 v40, -0.5, v9
	v_sub_f32_e32 v9, v42, v11
	v_mov_b32_e32 v10, v40
	v_fmac_f32_e32 v10, 0xbf5db3d7, v9
	v_fmac_f32_e32 v40, 0x3f5db3d7, v9
	v_add_f32_e32 v9, v42, v41
	v_add_f32_e32 v9, v11, v9
	;; [unrolled: 1-line block ×3, first 2 shown]
	v_fmac_f32_e32 v41, -0.5, v11
	v_sub_f32_e32 v32, v47, v43
	v_mov_b32_e32 v11, v41
	v_add_f32_e32 v0, v0, v48
	v_add_f32_e32 v6, v6, v49
	;; [unrolled: 1-line block ×4, first 2 shown]
	v_fmac_f32_e32 v11, 0x3f5db3d7, v32
	v_fmac_f32_e32 v41, 0xbf5db3d7, v32
	s_barrier
	ds_write2_b64 v81, v[0:1], v[2:3] offset1:8
	ds_write_b64 v81, v[4:5] offset:128
	ds_write2_b64 v82, v[6:7], v[36:37] offset1:8
	ds_write_b64 v82, v[38:39] offset:128
	s_and_saveexec_b64 s[2:3], s[0:1]
	s_cbranch_execz .LBB0_13
; %bb.12:
	v_mul_u32_u24_e32 v32, 24, v83
	v_or_b32_e32 v32, v32, v79
	v_lshl_add_u32 v32, v32, 3, v77
	ds_write2_b64 v32, v[8:9], v[10:11] offset1:8
	ds_write_b64 v32, v[40:41] offset:128
.LBB0_13:
	s_or_b64 exec, exec, s[2:3]
	s_waitcnt lgkmcnt(0)
	s_barrier
	s_and_saveexec_b64 s[0:1], vcc
	s_cbranch_execz .LBB0_15
; %bb.14:
	ds_read2_b64 v[0:3], v75 offset1:24
	ds_read2_b64 v[4:7], v75 offset0:48 offset1:72
	ds_read2_b64 v[36:39], v75 offset0:96 offset1:120
	;; [unrolled: 1-line block ×4, first 2 shown]
	ds_read_b64 v[69:70], v75 offset:1920
	s_waitcnt lgkmcnt(2)
	v_mov_b32_e32 v71, v42
	v_mov_b32_e32 v72, v43
.LBB0_15:
	s_or_b64 exec, exec, s[0:1]
	s_and_saveexec_b64 s[0:1], vcc
	s_cbranch_execz .LBB0_17
; %bb.16:
	v_mul_f32_e32 v32, v25, v3
	s_waitcnt lgkmcnt(0)
	v_mul_f32_e32 v33, v31, v70
	v_mul_f32_e32 v31, v31, v69
	v_fmac_f32_e32 v32, v24, v2
	v_fmac_f32_e32 v33, v30, v69
	v_fma_f32 v30, v30, v70, -v31
	v_mul_f32_e32 v2, v25, v2
	v_mul_f32_e32 v31, v27, v5
	;; [unrolled: 1-line block ×3, first 2 shown]
	v_sub_f32_e32 v34, v32, v33
	v_fma_f32 v24, v24, v3, -v2
	v_fmac_f32_e32 v31, v26, v4
	v_fmac_f32_e32 v42, v28, v71
	v_mul_f32_e32 v3, v29, v71
	v_mul_f32_e32 v35, 0xbe903f40, v34
	v_sub_f32_e32 v43, v31, v42
	v_fma_f32 v28, v28, v72, -v3
	v_mul_f32_e32 v3, v27, v4
	v_add_f32_e32 v25, v30, v24
	v_mov_b32_e32 v2, v35
	v_mul_f32_e32 v44, 0x3f0a6770, v43
	v_fma_f32 v26, v26, v5, -v3
	v_fmac_f32_e32 v2, 0xbf75a155, v25
	v_add_f32_e32 v27, v28, v26
	v_mov_b32_e32 v3, v44
	v_add_f32_e32 v2, v1, v2
	v_fmac_f32_e32 v3, 0x3f575c64, v27
	v_mul_f32_e32 v29, v17, v7
	v_mul_f32_e32 v45, v23, v41
	v_add_f32_e32 v2, v3, v2
	v_fmac_f32_e32 v29, v16, v6
	v_fmac_f32_e32 v45, v22, v40
	v_mul_f32_e32 v3, v23, v40
	v_sub_f32_e32 v46, v29, v45
	v_fma_f32 v22, v22, v41, -v3
	v_mul_f32_e32 v3, v17, v6
	v_mul_f32_e32 v4, 0xbf4178ce, v46
	v_fma_f32 v16, v16, v7, -v3
	v_add_f32_e32 v17, v22, v16
	v_mov_b32_e32 v3, v4
	v_fmac_f32_e32 v3, 0xbf27a4f4, v17
	v_mul_f32_e32 v23, v19, v37
	v_mul_f32_e32 v40, v21, v11
	v_add_f32_e32 v2, v3, v2
	v_fmac_f32_e32 v23, v18, v36
	v_fmac_f32_e32 v40, v20, v10
	v_mul_f32_e32 v3, v21, v10
	v_sub_f32_e32 v41, v23, v40
	v_fma_f32 v20, v20, v11, -v3
	v_mul_f32_e32 v3, v19, v36
	v_mul_f32_e32 v5, 0x3f68dda4, v41
	v_fma_f32 v18, v18, v37, -v3
	v_add_f32_e32 v19, v20, v18
	v_mov_b32_e32 v3, v5
	v_fmac_f32_e32 v3, 0x3ed4b147, v19
	v_mul_f32_e32 v21, v13, v39
	v_mul_f32_e32 v36, v15, v9
	v_add_f32_e32 v2, v3, v2
	v_fmac_f32_e32 v21, v12, v38
	v_fmac_f32_e32 v36, v14, v8
	v_mul_f32_e32 v3, v15, v8
	v_sub_f32_e32 v37, v21, v36
	v_fma_f32 v14, v14, v9, -v3
	v_mul_f32_e32 v3, v13, v38
	v_mul_f32_e32 v6, 0xbf7d64f0, v37
	v_fma_f32 v15, v12, v39, -v3
	v_add_f32_e32 v12, v14, v15
	v_mov_b32_e32 v3, v6
	v_sub_f32_e32 v39, v24, v30
	s_mov_b32 s2, 0xbf75a155
	v_fmac_f32_e32 v3, 0xbe11bafb, v12
	v_add_f32_e32 v38, v33, v32
	v_mul_f32_e32 v7, 0xbe903f40, v39
	v_sub_f32_e32 v48, v26, v28
	s_mov_b32 s3, 0x3f575c64
	v_add_f32_e32 v3, v3, v2
	v_fma_f32 v2, v38, s2, -v7
	v_add_f32_e32 v47, v42, v31
	v_mul_f32_e32 v8, 0x3f0a6770, v48
	v_add_f32_e32 v2, v0, v2
	v_fma_f32 v9, v47, s3, -v8
	v_sub_f32_e32 v50, v16, v22
	s_mov_b32 s6, 0xbf27a4f4
	v_add_f32_e32 v2, v9, v2
	v_add_f32_e32 v49, v45, v29
	v_mul_f32_e32 v9, 0xbf4178ce, v50
	v_fma_f32 v10, v49, s6, -v9
	v_sub_f32_e32 v69, v18, v20
	v_add_f32_e32 v2, v10, v2
	v_add_f32_e32 v51, v40, v23
	v_mul_f32_e32 v10, 0x3f68dda4, v69
	v_fma_f32 v11, v51, s7, -v10
	v_sub_f32_e32 v71, v15, v14
	s_mov_b32 s12, 0xbe11bafb
	v_add_f32_e32 v2, v11, v2
	v_add_f32_e32 v70, v36, v21
	v_mul_f32_e32 v11, 0xbf7d64f0, v71
	v_fma_f32 v13, v70, s12, -v11
	v_add_f32_e32 v2, v13, v2
	v_fma_f32 v13, v25, s2, -v35
	v_add_f32_e32 v13, v1, v13
	;; [unrolled: 2-line block ×4, first 2 shown]
	v_fma_f32 v5, v19, s7, -v5
	v_mul_f32_e32 v35, 0xbf27a4f4, v25
	v_add_f32_e32 v4, v5, v4
	v_fma_f32 v5, v12, s12, -v6
	v_fmac_f32_e32 v7, 0xbf75a155, v38
	v_mov_b32_e32 v6, v35
	v_mul_f32_e32 v44, 0xbe11bafb, v27
	v_add_f32_e32 v5, v5, v4
	v_add_f32_e32 v4, v0, v7
	v_fmac_f32_e32 v6, 0x3f4178ce, v34
	v_mov_b32_e32 v7, v44
	v_add_f32_e32 v6, v1, v6
	v_fmac_f32_e32 v7, 0xbf7d64f0, v43
	v_mul_f32_e32 v72, 0x3f575c64, v17
	v_add_f32_e32 v6, v7, v6
	v_mov_b32_e32 v7, v72
	v_fmac_f32_e32 v7, 0x3f0a6770, v46
	v_mul_f32_e32 v74, 0xbf75a155, v19
	v_add_f32_e32 v6, v7, v6
	v_mov_b32_e32 v7, v74
	v_fmac_f32_e32 v7, 0x3e903f40, v41
	v_mul_f32_e32 v77, 0x3ed4b147, v12
	v_add_f32_e32 v6, v7, v6
	v_mov_b32_e32 v7, v77
	v_fmac_f32_e32 v7, 0xbf68dda4, v37
	v_mul_f32_e32 v78, 0xbf4178ce, v39
	v_fmac_f32_e32 v8, 0x3f575c64, v47
	v_add_f32_e32 v7, v7, v6
	v_mov_b32_e32 v6, v78
	v_mul_f32_e32 v79, 0x3f7d64f0, v48
	v_add_f32_e32 v4, v8, v4
	v_fmac_f32_e32 v6, 0xbf27a4f4, v38
	v_mov_b32_e32 v8, v79
	v_add_f32_e32 v6, v0, v6
	v_fmac_f32_e32 v8, 0xbe11bafb, v47
	v_mul_f32_e32 v80, 0xbf0a6770, v50
	v_add_f32_e32 v6, v8, v6
	v_mov_b32_e32 v8, v80
	v_fmac_f32_e32 v8, 0x3f575c64, v49
	v_mul_f32_e32 v81, 0xbe903f40, v69
	v_add_f32_e32 v6, v8, v6
	v_mov_b32_e32 v8, v81
	v_fmac_f32_e32 v8, 0xbf75a155, v51
	v_mul_f32_e32 v82, 0x3f68dda4, v71
	v_add_f32_e32 v6, v8, v6
	v_mov_b32_e32 v8, v82
	v_fmac_f32_e32 v8, 0x3ed4b147, v70
	v_mul_f32_e32 v83, 0xbe11bafb, v25
	v_fmac_f32_e32 v9, 0xbf27a4f4, v49
	v_add_f32_e32 v6, v8, v6
	v_mov_b32_e32 v8, v83
	v_mul_f32_e32 v84, 0xbf75a155, v27
	;; [unrolled: 22-line block ×4, first 2 shown]
	v_add_f32_e32 v4, v11, v4
	v_fmac_f32_e32 v10, 0x3f68dda4, v34
	v_mov_b32_e32 v11, v94
	v_add_f32_e32 v10, v1, v10
	v_fmac_f32_e32 v11, 0x3f4178ce, v43
	v_mul_f32_e32 v95, 0xbf75a155, v17
	v_add_f32_e32 v10, v11, v10
	v_mov_b32_e32 v11, v95
	v_fmac_f32_e32 v11, 0xbe903f40, v46
	v_mul_f32_e32 v96, 0xbe11bafb, v19
	v_add_f32_e32 v10, v11, v10
	v_mov_b32_e32 v11, v96
	;; [unrolled: 4-line block ×4, first 2 shown]
	v_mul_f32_e32 v99, 0xbf4178ce, v48
	v_fmac_f32_e32 v10, 0x3ed4b147, v38
	v_mov_b32_e32 v13, v99
	v_add_f32_e32 v10, v0, v10
	v_fmac_f32_e32 v13, 0xbf27a4f4, v47
	v_mul_f32_e32 v100, 0x3e903f40, v50
	v_add_f32_e32 v10, v13, v10
	v_mov_b32_e32 v13, v100
	v_fmac_f32_e32 v13, 0xbf75a155, v49
	v_mul_f32_e32 v101, 0x3f7d64f0, v69
	v_add_f32_e32 v10, v13, v10
	v_mov_b32_e32 v13, v101
	;; [unrolled: 4-line block ×4, first 2 shown]
	v_mul_f32_e32 v27, 0x3ed4b147, v27
	v_fmac_f32_e32 v13, 0x3f0a6770, v34
	v_mov_b32_e32 v103, v27
	v_add_f32_e32 v13, v1, v13
	v_fmac_f32_e32 v103, 0x3f68dda4, v43
	v_add_f32_e32 v13, v103, v13
	v_mul_f32_e32 v103, 0xbe11bafb, v17
	v_mov_b32_e32 v17, v103
	v_fmac_f32_e32 v17, 0x3f7d64f0, v46
	v_mul_f32_e32 v104, 0xbf27a4f4, v19
	v_add_f32_e32 v13, v17, v13
	v_mov_b32_e32 v17, v104
	v_mul_f32_e32 v105, 0xbf75a155, v12
	v_fmac_f32_e32 v17, 0x3f4178ce, v41
	v_mov_b32_e32 v12, v105
	v_add_f32_e32 v13, v17, v13
	v_fmac_f32_e32 v12, 0x3e903f40, v37
	v_mul_f32_e32 v39, 0xbf0a6770, v39
	v_add_f32_e32 v13, v12, v13
	v_mov_b32_e32 v12, v39
	v_mul_f32_e32 v48, 0xbf68dda4, v48
	v_fmac_f32_e32 v12, 0x3f575c64, v38
	v_mov_b32_e32 v17, v48
	v_add_f32_e32 v12, v0, v12
	v_fmac_f32_e32 v17, 0x3ed4b147, v47
	v_mul_f32_e32 v50, 0xbf7d64f0, v50
	v_add_f32_e32 v12, v17, v12
	v_mov_b32_e32 v17, v50
	v_fmac_f32_e32 v17, 0xbe11bafb, v49
	v_mul_f32_e32 v69, 0xbf4178ce, v69
	v_add_f32_e32 v12, v17, v12
	v_mov_b32_e32 v17, v69
	;; [unrolled: 4-line block ×3, first 2 shown]
	v_fmac_f32_e32 v17, 0xbf75a155, v70
	v_add_f32_e32 v12, v17, v12
	v_add_f32_e32 v17, v24, v1
	;; [unrolled: 1-line block ×5, first 2 shown]
	v_fmac_f32_e32 v35, 0xbf4178ce, v34
	v_add_f32_e32 v15, v15, v16
	v_add_f32_e32 v16, v1, v35
	v_fmac_f32_e32 v44, 0x3f7d64f0, v43
	v_add_f32_e32 v16, v44, v16
	v_fmac_f32_e32 v72, 0xbf0a6770, v46
	;; [unrolled: 2-line block ×4, first 2 shown]
	v_add_f32_e32 v17, v77, v16
	v_fma_f32 v16, v38, s6, -v78
	v_add_f32_e32 v16, v0, v16
	v_fma_f32 v18, v47, s12, -v79
	;; [unrolled: 2-line block ×5, first 2 shown]
	v_fmac_f32_e32 v83, 0xbf7d64f0, v34
	v_add_f32_e32 v16, v18, v16
	v_add_f32_e32 v18, v1, v83
	v_fmac_f32_e32 v84, 0x3e903f40, v43
	v_add_f32_e32 v18, v84, v18
	v_fmac_f32_e32 v85, 0x3f68dda4, v46
	;; [unrolled: 2-line block ×4, first 2 shown]
	v_add_f32_e32 v14, v14, v15
	v_add_f32_e32 v19, v87, v18
	v_fma_f32 v18, v38, s12, -v88
	v_add_f32_e32 v14, v20, v14
	v_add_f32_e32 v18, v0, v18
	v_fma_f32 v20, v47, s2, -v89
	v_add_f32_e32 v18, v20, v18
	v_fma_f32 v20, v49, s7, -v90
	v_add_f32_e32 v14, v22, v14
	v_add_f32_e32 v18, v20, v18
	v_fma_f32 v20, v51, s3, -v91
	v_add_f32_e32 v14, v28, v14
	v_add_f32_e32 v18, v20, v18
	v_fma_f32 v20, v70, s6, -v92
	v_fmac_f32_e32 v93, 0xbf68dda4, v34
	v_add_f32_e32 v15, v30, v14
	v_add_f32_e32 v14, v0, v32
	;; [unrolled: 1-line block ×4, first 2 shown]
	v_fmac_f32_e32 v94, 0xbf4178ce, v43
	v_add_f32_e32 v14, v31, v14
	v_add_f32_e32 v20, v94, v20
	v_fmac_f32_e32 v95, 0x3e903f40, v46
	v_add_f32_e32 v14, v29, v14
	v_add_f32_e32 v20, v95, v20
	;; [unrolled: 3-line block ×4, first 2 shown]
	v_fma_f32 v20, v38, s7, -v98
	v_add_f32_e32 v20, v0, v20
	v_fma_f32 v22, v47, s6, -v99
	v_add_f32_e32 v20, v22, v20
	;; [unrolled: 2-line block ×5, first 2 shown]
	v_add_f32_e32 v20, v22, v20
	v_fmac_f32_e32 v25, 0xbf0a6770, v34
	v_fma_f32 v22, v38, s3, -v39
	v_add_f32_e32 v14, v40, v14
	v_add_f32_e32 v1, v1, v25
	v_fmac_f32_e32 v27, 0xbf68dda4, v43
	v_add_f32_e32 v0, v0, v22
	v_fma_f32 v22, v47, s7, -v48
	v_add_f32_e32 v14, v45, v14
	v_add_f32_e32 v1, v27, v1
	v_fmac_f32_e32 v103, 0xbf7d64f0, v46
	v_add_f32_e32 v0, v22, v0
	;; [unrolled: 5-line block ×4, first 2 shown]
	v_fma_f32 v22, v70, s2, -v71
	v_add_f32_e32 v1, v105, v1
	v_add_f32_e32 v0, v22, v0
	ds_write_b64 v75, v[14:15]
	ds_write2_b64 v73, v[12:13], v[10:11] offset0:24 offset1:48
	ds_write2_b64 v73, v[8:9], v[6:7] offset0:72 offset1:96
	;; [unrolled: 1-line block ×5, first 2 shown]
.LBB0_17:
	s_or_b64 exec, exec, s[0:1]
	s_waitcnt lgkmcnt(0)
	s_barrier
	ds_read2_b64 v[0:3], v75 offset1:33
	v_mad_u64_u32 v[4:5], s[0:1], s10, v64, 0
	s_mov_b32 s0, 0xf07c1f08
	s_mov_b32 s1, 0x3f6f07c1
	s_waitcnt lgkmcnt(0)
	v_mul_f32_e32 v6, v68, v1
	v_fmac_f32_e32 v6, v67, v0
	v_cvt_f64_f32_e32 v[6:7], v6
	v_mul_f32_e32 v0, v68, v0
	v_fma_f32 v0, v67, v1, -v0
	v_cvt_f64_f32_e32 v[0:1], v0
	v_mul_f64 v[6:7], v[6:7], s[0:1]
	v_mad_u64_u32 v[8:9], s[2:3], s8, v76, 0
	v_mul_f64 v[0:1], v[0:1], s[0:1]
	v_mad_u64_u32 v[10:11], s[2:3], s11, v64, v[5:6]
	v_mov_b32_e32 v5, v9
	v_mad_u64_u32 v[11:12], s[2:3], s9, v76, v[5:6]
	v_mov_b32_e32 v5, v10
	v_cvt_f32_f64_e32 v6, v[6:7]
	v_cvt_f32_f64_e32 v7, v[0:1]
	v_lshlrev_b64 v[0:1], 3, v[4:5]
	v_mul_f32_e32 v4, v66, v3
	v_fmac_f32_e32 v4, v65, v2
	v_cvt_f64_f32_e32 v[4:5], v4
	v_mov_b32_e32 v9, v11
	v_mov_b32_e32 v10, s5
	v_mul_f32_e32 v2, v66, v2
	v_add_co_u32_e32 v11, vcc, s4, v0
	v_fma_f32 v2, v65, v3, -v2
	v_addc_co_u32_e32 v10, vcc, v10, v1, vcc
	v_mul_f64 v[0:1], v[4:5], s[0:1]
	v_cvt_f64_f32_e32 v[2:3], v2
	v_lshlrev_b64 v[4:5], 3, v[8:9]
	ds_read_b64 v[8:9], v75 offset:1848
	v_add_co_u32_e32 v4, vcc, v11, v4
	v_mul_f64 v[2:3], v[2:3], s[0:1]
	v_addc_co_u32_e32 v5, vcc, v10, v5, vcc
	global_store_dwordx2 v[4:5], v[6:7], off
	v_cvt_f32_f64_e32 v6, v[0:1]
	ds_read_b64 v[0:1], v73 offset:528
	s_mul_i32 s2, s9, 0x108
	s_mul_hi_u32 s3, s8, 0x108
	v_cvt_f32_f64_e32 v7, v[2:3]
	s_add_i32 s2, s3, s2
	s_waitcnt lgkmcnt(0)
	v_mul_f32_e32 v2, v61, v1
	v_fmac_f32_e32 v2, v60, v0
	v_mul_f32_e32 v0, v61, v0
	v_fma_f32 v0, v60, v1, -v0
	v_cvt_f64_f32_e32 v[10:11], v2
	v_cvt_f64_f32_e32 v[12:13], v0
	ds_read2_b64 v[0:3], v75 offset0:99 offset1:132
	s_mul_i32 s3, s8, 0x108
	v_mov_b32_e32 v14, s2
	v_add_co_u32_e32 v4, vcc, s3, v4
	v_addc_co_u32_e32 v5, vcc, v5, v14, vcc
	global_store_dwordx2 v[4:5], v[6:7], off
	v_mul_f64 v[6:7], v[10:11], s[0:1]
	v_mul_f64 v[10:11], v[12:13], s[0:1]
	s_waitcnt lgkmcnt(0)
	v_mul_f32_e32 v12, v53, v1
	v_fmac_f32_e32 v12, v52, v0
	v_mul_f32_e32 v0, v53, v0
	v_fma_f32 v0, v52, v1, -v0
	v_cvt_f64_f32_e32 v[0:1], v0
	v_cvt_f64_f32_e32 v[12:13], v12
	v_cvt_f32_f64_e32 v6, v[6:7]
	v_cvt_f32_f64_e32 v7, v[10:11]
	v_mul_f64 v[0:1], v[0:1], s[0:1]
	v_mul_f64 v[10:11], v[12:13], s[0:1]
	v_mov_b32_e32 v12, s2
	v_add_co_u32_e32 v4, vcc, s3, v4
	v_addc_co_u32_e32 v5, vcc, v5, v12, vcc
	global_store_dwordx2 v[4:5], v[6:7], off
	v_cvt_f32_f64_e32 v7, v[0:1]
	v_mul_f32_e32 v0, v55, v3
	v_fmac_f32_e32 v0, v54, v2
	v_cvt_f32_f64_e32 v6, v[10:11]
	v_cvt_f64_f32_e32 v[10:11], v0
	v_mul_f32_e32 v0, v55, v2
	v_fma_f32 v0, v54, v3, -v0
	v_cvt_f64_f32_e32 v[12:13], v0
	ds_read2_b64 v[0:3], v75 offset0:165 offset1:198
	v_add_co_u32_e32 v4, vcc, s3, v4
	v_addc_co_u32_e32 v5, vcc, v5, v14, vcc
	global_store_dwordx2 v[4:5], v[6:7], off
	v_mul_f64 v[6:7], v[10:11], s[0:1]
	v_mul_f64 v[10:11], v[12:13], s[0:1]
	s_waitcnt lgkmcnt(0)
	v_mul_f32_e32 v12, v63, v1
	v_fmac_f32_e32 v12, v62, v0
	v_mul_f32_e32 v0, v63, v0
	v_fma_f32 v0, v62, v1, -v0
	v_cvt_f64_f32_e32 v[0:1], v0
	v_cvt_f64_f32_e32 v[12:13], v12
	v_cvt_f32_f64_e32 v6, v[6:7]
	v_cvt_f32_f64_e32 v7, v[10:11]
	v_mul_f64 v[0:1], v[0:1], s[0:1]
	v_mul_f64 v[10:11], v[12:13], s[0:1]
	v_mov_b32_e32 v12, s2
	v_add_co_u32_e32 v4, vcc, s3, v4
	v_addc_co_u32_e32 v5, vcc, v5, v12, vcc
	global_store_dwordx2 v[4:5], v[6:7], off
	v_cvt_f32_f64_e32 v7, v[0:1]
	v_mul_f32_e32 v0, v57, v3
	v_fmac_f32_e32 v0, v56, v2
	v_mul_f32_e32 v2, v57, v2
	v_fma_f32 v2, v56, v3, -v2
	v_cvt_f64_f32_e32 v[0:1], v0
	v_cvt_f64_f32_e32 v[2:3], v2
	v_cvt_f32_f64_e32 v6, v[10:11]
	v_mov_b32_e32 v10, s2
	v_add_co_u32_e32 v4, vcc, s3, v4
	v_addc_co_u32_e32 v5, vcc, v5, v10, vcc
	v_mul_f64 v[0:1], v[0:1], s[0:1]
	v_mul_f64 v[2:3], v[2:3], s[0:1]
	global_store_dwordx2 v[4:5], v[6:7], off
	v_mul_f32_e32 v6, v59, v9
	v_fmac_f32_e32 v6, v58, v8
	v_mul_f32_e32 v8, v59, v8
	v_fma_f32 v8, v58, v9, -v8
	v_cvt_f64_f32_e32 v[6:7], v6
	v_cvt_f64_f32_e32 v[8:9], v8
	v_cvt_f32_f64_e32 v0, v[0:1]
	v_cvt_f32_f64_e32 v1, v[2:3]
	v_mul_f64 v[2:3], v[6:7], s[0:1]
	v_mul_f64 v[6:7], v[8:9], s[0:1]
	v_mov_b32_e32 v8, s2
	v_add_co_u32_e32 v4, vcc, s3, v4
	v_addc_co_u32_e32 v5, vcc, v5, v8, vcc
	global_store_dwordx2 v[4:5], v[0:1], off
	v_cvt_f32_f64_e32 v0, v[2:3]
	v_cvt_f32_f64_e32 v1, v[6:7]
	v_mov_b32_e32 v3, s2
	v_add_co_u32_e32 v2, vcc, s3, v4
	v_addc_co_u32_e32 v3, vcc, v5, v3, vcc
	global_store_dwordx2 v[2:3], v[0:1], off
.LBB0_18:
	s_endpgm
	.section	.rodata,"a",@progbits
	.p2align	6, 0x0
	.amdhsa_kernel bluestein_single_back_len264_dim1_sp_op_CI_CI
		.amdhsa_group_segment_fixed_size 14784
		.amdhsa_private_segment_fixed_size 0
		.amdhsa_kernarg_size 104
		.amdhsa_user_sgpr_count 6
		.amdhsa_user_sgpr_private_segment_buffer 1
		.amdhsa_user_sgpr_dispatch_ptr 0
		.amdhsa_user_sgpr_queue_ptr 0
		.amdhsa_user_sgpr_kernarg_segment_ptr 1
		.amdhsa_user_sgpr_dispatch_id 0
		.amdhsa_user_sgpr_flat_scratch_init 0
		.amdhsa_user_sgpr_private_segment_size 0
		.amdhsa_uses_dynamic_stack 0
		.amdhsa_system_sgpr_private_segment_wavefront_offset 0
		.amdhsa_system_sgpr_workgroup_id_x 1
		.amdhsa_system_sgpr_workgroup_id_y 0
		.amdhsa_system_sgpr_workgroup_id_z 0
		.amdhsa_system_sgpr_workgroup_info 0
		.amdhsa_system_vgpr_workitem_id 0
		.amdhsa_next_free_vgpr 181
		.amdhsa_next_free_sgpr 20
		.amdhsa_reserve_vcc 1
		.amdhsa_reserve_flat_scratch 0
		.amdhsa_float_round_mode_32 0
		.amdhsa_float_round_mode_16_64 0
		.amdhsa_float_denorm_mode_32 3
		.amdhsa_float_denorm_mode_16_64 3
		.amdhsa_dx10_clamp 1
		.amdhsa_ieee_mode 1
		.amdhsa_fp16_overflow 0
		.amdhsa_exception_fp_ieee_invalid_op 0
		.amdhsa_exception_fp_denorm_src 0
		.amdhsa_exception_fp_ieee_div_zero 0
		.amdhsa_exception_fp_ieee_overflow 0
		.amdhsa_exception_fp_ieee_underflow 0
		.amdhsa_exception_fp_ieee_inexact 0
		.amdhsa_exception_int_div_zero 0
	.end_amdhsa_kernel
	.text
.Lfunc_end0:
	.size	bluestein_single_back_len264_dim1_sp_op_CI_CI, .Lfunc_end0-bluestein_single_back_len264_dim1_sp_op_CI_CI
                                        ; -- End function
	.section	.AMDGPU.csdata,"",@progbits
; Kernel info:
; codeLenInByte = 8680
; NumSgprs: 24
; NumVgprs: 181
; ScratchSize: 0
; MemoryBound: 0
; FloatMode: 240
; IeeeMode: 1
; LDSByteSize: 14784 bytes/workgroup (compile time only)
; SGPRBlocks: 2
; VGPRBlocks: 45
; NumSGPRsForWavesPerEU: 24
; NumVGPRsForWavesPerEU: 181
; Occupancy: 1
; WaveLimiterHint : 1
; COMPUTE_PGM_RSRC2:SCRATCH_EN: 0
; COMPUTE_PGM_RSRC2:USER_SGPR: 6
; COMPUTE_PGM_RSRC2:TRAP_HANDLER: 0
; COMPUTE_PGM_RSRC2:TGID_X_EN: 1
; COMPUTE_PGM_RSRC2:TGID_Y_EN: 0
; COMPUTE_PGM_RSRC2:TGID_Z_EN: 0
; COMPUTE_PGM_RSRC2:TIDIG_COMP_CNT: 0
	.type	__hip_cuid_7b25de691358a242,@object ; @__hip_cuid_7b25de691358a242
	.section	.bss,"aw",@nobits
	.globl	__hip_cuid_7b25de691358a242
__hip_cuid_7b25de691358a242:
	.byte	0                               ; 0x0
	.size	__hip_cuid_7b25de691358a242, 1

	.ident	"AMD clang version 19.0.0git (https://github.com/RadeonOpenCompute/llvm-project roc-6.4.0 25133 c7fe45cf4b819c5991fe208aaa96edf142730f1d)"
	.section	".note.GNU-stack","",@progbits
	.addrsig
	.addrsig_sym __hip_cuid_7b25de691358a242
	.amdgpu_metadata
---
amdhsa.kernels:
  - .args:
      - .actual_access:  read_only
        .address_space:  global
        .offset:         0
        .size:           8
        .value_kind:     global_buffer
      - .actual_access:  read_only
        .address_space:  global
        .offset:         8
        .size:           8
        .value_kind:     global_buffer
      - .actual_access:  read_only
        .address_space:  global
        .offset:         16
        .size:           8
        .value_kind:     global_buffer
      - .actual_access:  read_only
        .address_space:  global
        .offset:         24
        .size:           8
        .value_kind:     global_buffer
      - .actual_access:  read_only
        .address_space:  global
        .offset:         32
        .size:           8
        .value_kind:     global_buffer
      - .offset:         40
        .size:           8
        .value_kind:     by_value
      - .address_space:  global
        .offset:         48
        .size:           8
        .value_kind:     global_buffer
      - .address_space:  global
        .offset:         56
        .size:           8
        .value_kind:     global_buffer
      - .address_space:  global
        .offset:         64
        .size:           8
        .value_kind:     global_buffer
      - .address_space:  global
        .offset:         72
        .size:           8
        .value_kind:     global_buffer
      - .offset:         80
        .size:           4
        .value_kind:     by_value
      - .address_space:  global
        .offset:         88
        .size:           8
        .value_kind:     global_buffer
      - .address_space:  global
        .offset:         96
        .size:           8
        .value_kind:     global_buffer
    .group_segment_fixed_size: 14784
    .kernarg_segment_align: 8
    .kernarg_segment_size: 104
    .language:       OpenCL C
    .language_version:
      - 2
      - 0
    .max_flat_workgroup_size: 231
    .name:           bluestein_single_back_len264_dim1_sp_op_CI_CI
    .private_segment_fixed_size: 0
    .sgpr_count:     24
    .sgpr_spill_count: 0
    .symbol:         bluestein_single_back_len264_dim1_sp_op_CI_CI.kd
    .uniform_work_group_size: 1
    .uses_dynamic_stack: false
    .vgpr_count:     181
    .vgpr_spill_count: 0
    .wavefront_size: 64
amdhsa.target:   amdgcn-amd-amdhsa--gfx906
amdhsa.version:
  - 1
  - 2
...

	.end_amdgpu_metadata
